;; amdgpu-corpus repo=zjin-lcf/HeCBench kind=compiled arch=gfx1250 opt=O3
	.amdgcn_target "amdgcn-amd-amdhsa--gfx1250"
	.amdhsa_code_object_version 6
	.text
	.protected	_Z15iso_2dfd_kernelPfPKfS1_fmm ; -- Begin function _Z15iso_2dfd_kernelPfPKfS1_fmm
	.globl	_Z15iso_2dfd_kernelPfPKfS1_fmm
	.p2align	8
	.type	_Z15iso_2dfd_kernelPfPKfS1_fmm,@function
_Z15iso_2dfd_kernelPfPKfS1_fmm:         ; @_Z15iso_2dfd_kernelPfPKfS1_fmm
; %bb.0:
	s_clause 0x1
	s_load_b32 s2, s[0:1], 0x3c
	s_load_b128 s[4:7], s[0:1], 0x20
	s_bfe_u32 s8, ttmp6, 0x4000c
	s_bfe_u32 s9, ttmp6, 0x40010
	s_add_co_i32 s8, s8, 1
	s_add_co_i32 s9, s9, 1
	s_and_b32 s3, ttmp6, 15
	s_bfe_u32 s10, ttmp6, 0x40004
	s_mul_i32 s8, ttmp9, s8
	s_mul_i32 s9, ttmp7, s9
	s_getreg_b32 s11, hwreg(HW_REG_IB_STS2, 6, 4)
	v_and_b32_e32 v1, 0x3ff, v0
	v_bfe_u32 v0, v0, 10, 10
	s_add_co_i32 s3, s3, s8
	s_add_co_i32 s10, s10, s9
	v_mov_b32_e32 v3, 0
	s_wait_kmcnt 0x0
	s_lshr_b32 s8, s2, 16
	s_and_b32 s2, s2, 0xffff
	s_cmp_eq_u32 s11, 0
	s_cselect_b32 s3, ttmp9, s3
	s_cselect_b32 s9, ttmp7, s10
	v_mad_u32 v2, s3, s2, v1
	v_mad_u32 v0, s9, s8, v0
	v_mov_b32_e32 v1, v3
	s_delay_alu instid0(VALU_DEP_3) | instskip(NEXT) | instid1(VALU_DEP_2)
	v_cmp_gt_u64_e64 s2, s[6:7], v[2:3]
	v_cmp_gt_u64_e32 vcc_lo, s[4:5], v[0:1]
	s_and_b32 s2, s2, vcc_lo
	s_delay_alu instid0(SALU_CYCLE_1)
	s_and_saveexec_b32 s3, s2
	s_cbranch_execz .LBB0_4
; %bb.1:
	v_cmp_ne_u32_e32 vcc_lo, 0, v2
	s_and_b32 exec_lo, exec_lo, vcc_lo
	s_cbranch_execz .LBB0_4
; %bb.2:
	s_add_nc_u64 s[2:3], s[6:7], -1
	s_add_nc_u64 s[4:5], s[4:5], -1
	v_cmp_gt_u64_e32 vcc_lo, s[2:3], v[2:3]
	v_cmp_gt_u64_e64 s2, s[4:5], v[0:1]
	v_cmp_ne_u32_e64 s3, 0, v0
	s_and_b32 s2, vcc_lo, s2
	s_delay_alu instid0(SALU_CYCLE_1) | instskip(NEXT) | instid1(SALU_CYCLE_1)
	s_and_b32 s2, s2, s3
	s_and_b32 exec_lo, exec_lo, s2
	s_cbranch_execz .LBB0_4
; %bb.3:
	v_mad_nc_u64_u32 v[2:3], s6, v0, v[2:3]
	s_load_b128 s[8:11], s[0:1], 0x0
	s_delay_alu instid0(VALU_DEP_1) | instskip(SKIP_2) | instid1(VALU_DEP_1)
	v_mad_u32 v3, s7, v0, v3
	s_wait_xcnt 0x0
	s_load_b96 s[0:2], s[0:1], 0x10
	v_lshlrev_b64_e32 v[4:5], 2, v[2:3]
	v_sub_nc_u64_e64 v[8:9], v[2:3], s[6:7]
	s_wait_kmcnt 0x0
	s_delay_alu instid0(VALU_DEP_2) | instskip(NEXT) | instid1(VALU_DEP_2)
	v_add_nc_u64_e32 v[6:7], s[10:11], v[4:5]
	v_lshl_add_u64 v[8:9], v[8:9], 2, s[10:11]
	global_load_b96 v[0:2], v[6:7], off offset:-4
	s_wait_xcnt 0x0
	v_lshl_add_u64 v[6:7], s[6:7], 2, v[6:7]
	s_clause 0x1
	global_load_b32 v3, v[6:7], off
	global_load_b32 v11, v[8:9], off
	s_wait_xcnt 0x1
	v_add_nc_u64_e32 v[6:7], s[0:1], v[4:5]
	v_add_nc_u64_e32 v[4:5], s[8:9], v[4:5]
	global_load_b32 v8, v[6:7], off
	global_load_b32 v9, v[4:5], off
	s_wait_loadcnt 0x4
	s_wait_xcnt 0x1
	v_dual_add_f32 v6, v1, v1 :: v_dual_mov_b32 v10, v0
	s_wait_loadcnt 0x3
	s_delay_alu instid0(VALU_DEP_1) | instskip(SKIP_1) | instid1(VALU_DEP_1)
	v_pk_add_f32 v[2:3], v[2:3], v[6:7] op_sel_hi:[1,0] neg_lo:[0,1] neg_hi:[0,1]
	s_wait_loadcnt 0x2
	v_pk_add_f32 v[2:3], v[10:11], v[2:3]
	s_wait_loadcnt 0x0
	v_fma_f32 v1, v1, 2.0, -v9
	s_delay_alu instid0(VALU_DEP_2) | instskip(NEXT) | instid1(VALU_DEP_1)
	v_dual_add_f32 v0, 0, v2 :: v_dual_mul_f32 v2, s2, v8
	v_add_f32_e32 v0, v0, v3
	s_delay_alu instid0(VALU_DEP_1)
	v_fmac_f32_e32 v1, v0, v2
	global_store_b32 v[4:5], v1, off
.LBB0_4:
	s_endpgm
	.section	.rodata,"a",@progbits
	.p2align	6, 0x0
	.amdhsa_kernel _Z15iso_2dfd_kernelPfPKfS1_fmm
		.amdhsa_group_segment_fixed_size 0
		.amdhsa_private_segment_fixed_size 0
		.amdhsa_kernarg_size 304
		.amdhsa_user_sgpr_count 2
		.amdhsa_user_sgpr_dispatch_ptr 0
		.amdhsa_user_sgpr_queue_ptr 0
		.amdhsa_user_sgpr_kernarg_segment_ptr 1
		.amdhsa_user_sgpr_dispatch_id 0
		.amdhsa_user_sgpr_kernarg_preload_length 0
		.amdhsa_user_sgpr_kernarg_preload_offset 0
		.amdhsa_user_sgpr_private_segment_size 0
		.amdhsa_wavefront_size32 1
		.amdhsa_uses_dynamic_stack 0
		.amdhsa_enable_private_segment 0
		.amdhsa_system_sgpr_workgroup_id_x 1
		.amdhsa_system_sgpr_workgroup_id_y 1
		.amdhsa_system_sgpr_workgroup_id_z 0
		.amdhsa_system_sgpr_workgroup_info 0
		.amdhsa_system_vgpr_workitem_id 1
		.amdhsa_next_free_vgpr 12
		.amdhsa_next_free_sgpr 12
		.amdhsa_named_barrier_count 0
		.amdhsa_reserve_vcc 1
		.amdhsa_float_round_mode_32 0
		.amdhsa_float_round_mode_16_64 0
		.amdhsa_float_denorm_mode_32 3
		.amdhsa_float_denorm_mode_16_64 3
		.amdhsa_fp16_overflow 0
		.amdhsa_memory_ordered 1
		.amdhsa_forward_progress 1
		.amdhsa_inst_pref_size 4
		.amdhsa_round_robin_scheduling 0
		.amdhsa_exception_fp_ieee_invalid_op 0
		.amdhsa_exception_fp_denorm_src 0
		.amdhsa_exception_fp_ieee_div_zero 0
		.amdhsa_exception_fp_ieee_overflow 0
		.amdhsa_exception_fp_ieee_underflow 0
		.amdhsa_exception_fp_ieee_inexact 0
		.amdhsa_exception_int_div_zero 0
	.end_amdhsa_kernel
	.text
.Lfunc_end0:
	.size	_Z15iso_2dfd_kernelPfPKfS1_fmm, .Lfunc_end0-_Z15iso_2dfd_kernelPfPKfS1_fmm
                                        ; -- End function
	.set _Z15iso_2dfd_kernelPfPKfS1_fmm.num_vgpr, 12
	.set _Z15iso_2dfd_kernelPfPKfS1_fmm.num_agpr, 0
	.set _Z15iso_2dfd_kernelPfPKfS1_fmm.numbered_sgpr, 12
	.set _Z15iso_2dfd_kernelPfPKfS1_fmm.num_named_barrier, 0
	.set _Z15iso_2dfd_kernelPfPKfS1_fmm.private_seg_size, 0
	.set _Z15iso_2dfd_kernelPfPKfS1_fmm.uses_vcc, 1
	.set _Z15iso_2dfd_kernelPfPKfS1_fmm.uses_flat_scratch, 0
	.set _Z15iso_2dfd_kernelPfPKfS1_fmm.has_dyn_sized_stack, 0
	.set _Z15iso_2dfd_kernelPfPKfS1_fmm.has_recursion, 0
	.set _Z15iso_2dfd_kernelPfPKfS1_fmm.has_indirect_call, 0
	.section	.AMDGPU.csdata,"",@progbits
; Kernel info:
; codeLenInByte = 500
; TotalNumSgprs: 14
; NumVgprs: 12
; ScratchSize: 0
; MemoryBound: 0
; FloatMode: 240
; IeeeMode: 1
; LDSByteSize: 0 bytes/workgroup (compile time only)
; SGPRBlocks: 0
; VGPRBlocks: 0
; NumSGPRsForWavesPerEU: 14
; NumVGPRsForWavesPerEU: 12
; NamedBarCnt: 0
; Occupancy: 16
; WaveLimiterHint : 0
; COMPUTE_PGM_RSRC2:SCRATCH_EN: 0
; COMPUTE_PGM_RSRC2:USER_SGPR: 2
; COMPUTE_PGM_RSRC2:TRAP_HANDLER: 0
; COMPUTE_PGM_RSRC2:TGID_X_EN: 1
; COMPUTE_PGM_RSRC2:TGID_Y_EN: 1
; COMPUTE_PGM_RSRC2:TGID_Z_EN: 0
; COMPUTE_PGM_RSRC2:TIDIG_COMP_CNT: 1
	.text
	.p2alignl 7, 3214868480
	.fill 96, 4, 3214868480
	.section	.AMDGPU.gpr_maximums,"",@progbits
	.set amdgpu.max_num_vgpr, 0
	.set amdgpu.max_num_agpr, 0
	.set amdgpu.max_num_sgpr, 0
	.text
	.type	__hip_cuid_9b6ca25528f4f3b6,@object ; @__hip_cuid_9b6ca25528f4f3b6
	.section	.bss,"aw",@nobits
	.globl	__hip_cuid_9b6ca25528f4f3b6
__hip_cuid_9b6ca25528f4f3b6:
	.byte	0                               ; 0x0
	.size	__hip_cuid_9b6ca25528f4f3b6, 1

	.ident	"AMD clang version 22.0.0git (https://github.com/RadeonOpenCompute/llvm-project roc-7.2.4 26084 f58b06dce1f9c15707c5f808fd002e18c2accf7e)"
	.section	".note.GNU-stack","",@progbits
	.addrsig
	.addrsig_sym __hip_cuid_9b6ca25528f4f3b6
	.amdgpu_metadata
---
amdhsa.kernels:
  - .args:
      - .address_space:  global
        .offset:         0
        .size:           8
        .value_kind:     global_buffer
      - .actual_access:  read_only
        .address_space:  global
        .offset:         8
        .size:           8
        .value_kind:     global_buffer
      - .actual_access:  read_only
        .address_space:  global
        .offset:         16
        .size:           8
        .value_kind:     global_buffer
      - .offset:         24
        .size:           4
        .value_kind:     by_value
      - .offset:         32
        .size:           8
        .value_kind:     by_value
      - .offset:         40
        .size:           8
        .value_kind:     by_value
      - .offset:         48
        .size:           4
        .value_kind:     hidden_block_count_x
      - .offset:         52
        .size:           4
        .value_kind:     hidden_block_count_y
      - .offset:         56
        .size:           4
        .value_kind:     hidden_block_count_z
      - .offset:         60
        .size:           2
        .value_kind:     hidden_group_size_x
      - .offset:         62
        .size:           2
        .value_kind:     hidden_group_size_y
      - .offset:         64
        .size:           2
        .value_kind:     hidden_group_size_z
      - .offset:         66
        .size:           2
        .value_kind:     hidden_remainder_x
      - .offset:         68
        .size:           2
        .value_kind:     hidden_remainder_y
      - .offset:         70
        .size:           2
        .value_kind:     hidden_remainder_z
      - .offset:         88
        .size:           8
        .value_kind:     hidden_global_offset_x
      - .offset:         96
        .size:           8
        .value_kind:     hidden_global_offset_y
      - .offset:         104
        .size:           8
        .value_kind:     hidden_global_offset_z
      - .offset:         112
        .size:           2
        .value_kind:     hidden_grid_dims
    .group_segment_fixed_size: 0
    .kernarg_segment_align: 8
    .kernarg_segment_size: 304
    .language:       OpenCL C
    .language_version:
      - 2
      - 0
    .max_flat_workgroup_size: 1024
    .name:           _Z15iso_2dfd_kernelPfPKfS1_fmm
    .private_segment_fixed_size: 0
    .sgpr_count:     14
    .sgpr_spill_count: 0
    .symbol:         _Z15iso_2dfd_kernelPfPKfS1_fmm.kd
    .uniform_work_group_size: 1
    .uses_dynamic_stack: false
    .vgpr_count:     12
    .vgpr_spill_count: 0
    .wavefront_size: 32
amdhsa.target:   amdgcn-amd-amdhsa--gfx1250
amdhsa.version:
  - 1
  - 2
...

	.end_amdgpu_metadata
